;; amdgpu-corpus repo=amd/amd-lab-notes kind=compiled arch=gfx906 opt=O3
	.amdgcn_target "amdgcn-amd-amdhsa--gfx906"
	.amdhsa_code_object_version 6
	.text
	.protected	_Z24BoundaryConditionsKerneliiiddPKdPd ; -- Begin function _Z24BoundaryConditionsKerneliiiddPKdPd
	.globl	_Z24BoundaryConditionsKerneliiiddPKdPd
	.p2align	8
	.type	_Z24BoundaryConditionsKerneliiiddPKdPd,@function
_Z24BoundaryConditionsKerneliiiddPKdPd: ; @_Z24BoundaryConditionsKerneliiiddPKdPd
; %bb.0:
	s_load_dword s7, s[4:5], 0x3c
	s_load_dwordx4 s[0:3], s[4:5], 0x0
	s_waitcnt lgkmcnt(0)
	s_and_b32 s3, s7, 0xffff
	s_add_i32 s7, s1, s0
	s_mul_i32 s6, s6, s3
	s_lshl_b32 s3, s7, 1
	v_add_u32_e32 v0, s6, v0
	s_add_i32 s3, s3, -2
	v_cmp_gt_i32_e32 vcc, s3, v0
	s_and_saveexec_b64 s[6:7], vcc
	s_cbranch_execz .LBB0_18
; %bb.1:
	s_add_i32 s3, s0, -1
	v_cmp_le_i32_e32 vcc, s0, v0
	v_mov_b32_e32 v7, 0
	s_and_saveexec_b64 s[6:7], vcc
	s_cbranch_execz .LBB0_7
; %bb.2:
	s_lshl_b32 s10, s0, 1
	v_cmp_le_i32_e32 vcc, s10, v0
                                        ; implicit-def: $vgpr7
	s_and_saveexec_b64 s[8:9], vcc
	s_xor_b64 s[8:9], exec, s[8:9]
	s_cbranch_execz .LBB0_4
; %bb.3:
	v_subrev_u32_e32 v1, s10, v0
	s_add_i32 s10, s1, s10
	v_subrev_u32_e32 v2, s1, v1
	s_add_i32 s10, s10, -1
	v_add_u32_e32 v2, 2, v2
	v_add_u32_e32 v1, 1, v1
	v_cmp_gt_i32_e32 vcc, s10, v0
	v_mov_b32_e32 v0, s3
	v_cndmask_b32_e32 v7, v2, v1, vcc
	v_cndmask_b32_e64 v0, v0, 0, vcc
.LBB0_4:
	s_andn2_saveexec_b64 s[8:9], s[8:9]
; %bb.5:
	v_subrev_u32_e32 v0, s0, v0
	s_add_i32 s0, s1, -1
	v_mov_b32_e32 v7, s0
; %bb.6:
	s_or_b64 exec, exec, s[8:9]
.LBB0_7:
	s_or_b64 exec, exec, s[6:7]
	s_load_dwordx8 s[8:15], s[4:5], 0x10
	v_mad_u64_u32 v[5:6], s[4:5], v7, s2, v[0:1]
	v_mov_b32_e32 v1, 0
	v_mov_b32_e32 v3, 0
	;; [unrolled: 1-line block ×4, first 2 shown]
	v_cmp_ne_u32_e32 vcc, 0, v7
	s_and_saveexec_b64 s[4:5], vcc
	s_cbranch_execz .LBB0_9
; %bb.8:
	v_subrev_u32_e32 v3, s2, v5
	v_ashrrev_i32_e32 v4, 31, v3
	v_lshlrev_b64 v[3:4], 3, v[3:4]
	s_waitcnt lgkmcnt(0)
	v_mov_b32_e32 v6, s13
	v_add_co_u32_e32 v3, vcc, s12, v3
	v_addc_co_u32_e32 v4, vcc, v6, v4, vcc
	global_load_dwordx2 v[3:4], v[3:4], off
.LBB0_9:
	s_or_b64 exec, exec, s[4:5]
	s_add_i32 s0, s1, -1
	v_cmp_ne_u32_e32 vcc, s0, v7
	s_and_saveexec_b64 s[0:1], vcc
	s_cbranch_execz .LBB0_11
; %bb.10:
	v_add_u32_e32 v1, s2, v5
	v_ashrrev_i32_e32 v2, 31, v1
	v_lshlrev_b64 v[1:2], 3, v[1:2]
	s_waitcnt lgkmcnt(0)
	v_mov_b32_e32 v6, s13
	v_add_co_u32_e32 v1, vcc, s12, v1
	v_addc_co_u32_e32 v2, vcc, v6, v2, vcc
	global_load_dwordx2 v[1:2], v[1:2], off
.LBB0_11:
	s_or_b64 exec, exec, s[0:1]
	v_cmp_ne_u32_e32 vcc, 0, v0
	v_ashrrev_i32_e32 v6, 31, v5
                                        ; implicit-def: $vgpr7_vgpr8
	s_and_saveexec_b64 s[0:1], vcc
	s_xor_b64 s[0:1], exec, s[0:1]
	s_cbranch_execz .LBB0_13
; %bb.12:
	v_lshlrev_b64 v[7:8], 3, v[5:6]
	s_waitcnt lgkmcnt(0)
	v_mov_b32_e32 v9, s13
	v_add_co_u32_e32 v7, vcc, s12, v7
	v_addc_co_u32_e32 v8, vcc, v9, v8, vcc
	global_load_dwordx2 v[7:8], v[7:8], off offset:-8
.LBB0_13:
	s_andn2_saveexec_b64 s[0:1], s[0:1]
	s_cbranch_execz .LBB0_15
; %bb.14:
	s_waitcnt vmcnt(0)
	v_mov_b32_e32 v7, 0
	v_mov_b32_e32 v8, 0
.LBB0_15:
	s_or_b64 exec, exec, s[0:1]
	v_mov_b32_e32 v9, 0
	v_lshlrev_b64 v[5:6], 3, v[5:6]
	v_mov_b32_e32 v10, 0
	v_cmp_ne_u32_e32 vcc, s3, v0
	s_and_saveexec_b64 s[0:1], vcc
	s_cbranch_execz .LBB0_17
; %bb.16:
	s_waitcnt lgkmcnt(0)
	v_mov_b32_e32 v0, s13
	v_add_co_u32_e32 v9, vcc, s12, v5
	v_addc_co_u32_e32 v10, vcc, v0, v6, vcc
	global_load_dwordx2 v[9:10], v[9:10], off offset:8
.LBB0_17:
	s_or_b64 exec, exec, s[0:1]
	s_waitcnt lgkmcnt(0)
	v_mov_b32_e32 v0, s13
	v_add_co_u32_e32 v11, vcc, s12, v5
	v_addc_co_u32_e32 v12, vcc, v0, v6, vcc
	global_load_dwordx2 v[11:12], v[11:12], off
	s_waitcnt vmcnt(0)
	v_fma_f64 v[3:4], v[11:12], 2.0, -v[3:4]
	v_fma_f64 v[7:8], v[11:12], 2.0, -v[7:8]
	v_add_f64 v[0:1], v[3:4], -v[1:2]
	v_add_f64 v[2:3], v[7:8], -v[9:10]
	v_mul_f64 v[0:1], s[10:11], v[0:1]
	v_fma_f64 v[0:1], s[8:9], v[2:3], v[0:1]
	v_mov_b32_e32 v3, s15
	v_add_co_u32_e32 v2, vcc, s14, v5
	v_addc_co_u32_e32 v3, vcc, v3, v6, vcc
	global_store_dwordx2 v[2:3], v[0:1], off glc slc
.LBB0_18:
	s_endpgm
	.section	.rodata,"a",@progbits
	.p2align	6, 0x0
	.amdhsa_kernel _Z24BoundaryConditionsKerneliiiddPKdPd
		.amdhsa_group_segment_fixed_size 0
		.amdhsa_private_segment_fixed_size 0
		.amdhsa_kernarg_size 304
		.amdhsa_user_sgpr_count 6
		.amdhsa_user_sgpr_private_segment_buffer 1
		.amdhsa_user_sgpr_dispatch_ptr 0
		.amdhsa_user_sgpr_queue_ptr 0
		.amdhsa_user_sgpr_kernarg_segment_ptr 1
		.amdhsa_user_sgpr_dispatch_id 0
		.amdhsa_user_sgpr_flat_scratch_init 0
		.amdhsa_user_sgpr_private_segment_size 0
		.amdhsa_uses_dynamic_stack 0
		.amdhsa_system_sgpr_private_segment_wavefront_offset 0
		.amdhsa_system_sgpr_workgroup_id_x 1
		.amdhsa_system_sgpr_workgroup_id_y 0
		.amdhsa_system_sgpr_workgroup_id_z 0
		.amdhsa_system_sgpr_workgroup_info 0
		.amdhsa_system_vgpr_workitem_id 0
		.amdhsa_next_free_vgpr 13
		.amdhsa_next_free_sgpr 16
		.amdhsa_reserve_vcc 1
		.amdhsa_reserve_flat_scratch 0
		.amdhsa_float_round_mode_32 0
		.amdhsa_float_round_mode_16_64 0
		.amdhsa_float_denorm_mode_32 3
		.amdhsa_float_denorm_mode_16_64 3
		.amdhsa_dx10_clamp 1
		.amdhsa_ieee_mode 1
		.amdhsa_fp16_overflow 0
		.amdhsa_exception_fp_ieee_invalid_op 0
		.amdhsa_exception_fp_denorm_src 0
		.amdhsa_exception_fp_ieee_div_zero 0
		.amdhsa_exception_fp_ieee_overflow 0
		.amdhsa_exception_fp_ieee_underflow 0
		.amdhsa_exception_fp_ieee_inexact 0
		.amdhsa_exception_int_div_zero 0
	.end_amdhsa_kernel
	.text
.Lfunc_end0:
	.size	_Z24BoundaryConditionsKerneliiiddPKdPd, .Lfunc_end0-_Z24BoundaryConditionsKerneliiiddPKdPd
                                        ; -- End function
	.set _Z24BoundaryConditionsKerneliiiddPKdPd.num_vgpr, 13
	.set _Z24BoundaryConditionsKerneliiiddPKdPd.num_agpr, 0
	.set _Z24BoundaryConditionsKerneliiiddPKdPd.numbered_sgpr, 16
	.set _Z24BoundaryConditionsKerneliiiddPKdPd.num_named_barrier, 0
	.set _Z24BoundaryConditionsKerneliiiddPKdPd.private_seg_size, 0
	.set _Z24BoundaryConditionsKerneliiiddPKdPd.uses_vcc, 1
	.set _Z24BoundaryConditionsKerneliiiddPKdPd.uses_flat_scratch, 0
	.set _Z24BoundaryConditionsKerneliiiddPKdPd.has_dyn_sized_stack, 0
	.set _Z24BoundaryConditionsKerneliiiddPKdPd.has_recursion, 0
	.set _Z24BoundaryConditionsKerneliiiddPKdPd.has_indirect_call, 0
	.section	.AMDGPU.csdata,"",@progbits
; Kernel info:
; codeLenInByte = 548
; TotalNumSgprs: 20
; NumVgprs: 13
; ScratchSize: 0
; MemoryBound: 0
; FloatMode: 240
; IeeeMode: 1
; LDSByteSize: 0 bytes/workgroup (compile time only)
; SGPRBlocks: 2
; VGPRBlocks: 3
; NumSGPRsForWavesPerEU: 20
; NumVGPRsForWavesPerEU: 13
; Occupancy: 10
; WaveLimiterHint : 0
; COMPUTE_PGM_RSRC2:SCRATCH_EN: 0
; COMPUTE_PGM_RSRC2:USER_SGPR: 6
; COMPUTE_PGM_RSRC2:TRAP_HANDLER: 0
; COMPUTE_PGM_RSRC2:TGID_X_EN: 1
; COMPUTE_PGM_RSRC2:TGID_Y_EN: 0
; COMPUTE_PGM_RSRC2:TGID_Z_EN: 0
; COMPUTE_PGM_RSRC2:TIDIG_COMP_CNT: 0
	.section	.AMDGPU.gpr_maximums,"",@progbits
	.set amdgpu.max_num_vgpr, 0
	.set amdgpu.max_num_agpr, 0
	.set amdgpu.max_num_sgpr, 0
	.section	.AMDGPU.csdata,"",@progbits
	.type	__hip_cuid_1d6ad2414af27614,@object ; @__hip_cuid_1d6ad2414af27614
	.section	.bss,"aw",@nobits
	.globl	__hip_cuid_1d6ad2414af27614
__hip_cuid_1d6ad2414af27614:
	.byte	0                               ; 0x0
	.size	__hip_cuid_1d6ad2414af27614, 1

	.ident	"AMD clang version 22.0.0git (https://github.com/RadeonOpenCompute/llvm-project roc-7.2.4 26084 f58b06dce1f9c15707c5f808fd002e18c2accf7e)"
	.section	".note.GNU-stack","",@progbits
	.addrsig
	.addrsig_sym __hip_cuid_1d6ad2414af27614
	.amdgpu_metadata
---
amdhsa.kernels:
  - .args:
      - .offset:         0
        .size:           4
        .value_kind:     by_value
      - .offset:         4
        .size:           4
        .value_kind:     by_value
      - .offset:         8
        .size:           4
        .value_kind:     by_value
      - .offset:         16
        .size:           8
        .value_kind:     by_value
      - .offset:         24
        .size:           8
        .value_kind:     by_value
      - .address_space:  global
        .offset:         32
        .size:           8
        .value_kind:     global_buffer
      - .address_space:  global
        .offset:         40
        .size:           8
        .value_kind:     global_buffer
      - .offset:         48
        .size:           4
        .value_kind:     hidden_block_count_x
      - .offset:         52
        .size:           4
        .value_kind:     hidden_block_count_y
      - .offset:         56
        .size:           4
        .value_kind:     hidden_block_count_z
      - .offset:         60
        .size:           2
        .value_kind:     hidden_group_size_x
      - .offset:         62
        .size:           2
        .value_kind:     hidden_group_size_y
      - .offset:         64
        .size:           2
        .value_kind:     hidden_group_size_z
      - .offset:         66
        .size:           2
        .value_kind:     hidden_remainder_x
      - .offset:         68
        .size:           2
        .value_kind:     hidden_remainder_y
      - .offset:         70
        .size:           2
        .value_kind:     hidden_remainder_z
      - .offset:         88
        .size:           8
        .value_kind:     hidden_global_offset_x
      - .offset:         96
        .size:           8
        .value_kind:     hidden_global_offset_y
      - .offset:         104
        .size:           8
        .value_kind:     hidden_global_offset_z
      - .offset:         112
        .size:           2
        .value_kind:     hidden_grid_dims
    .group_segment_fixed_size: 0
    .kernarg_segment_align: 8
    .kernarg_segment_size: 304
    .language:       OpenCL C
    .language_version:
      - 2
      - 0
    .max_flat_workgroup_size: 256
    .name:           _Z24BoundaryConditionsKerneliiiddPKdPd
    .private_segment_fixed_size: 0
    .sgpr_count:     20
    .sgpr_spill_count: 0
    .symbol:         _Z24BoundaryConditionsKerneliiiddPKdPd.kd
    .uniform_work_group_size: 1
    .uses_dynamic_stack: false
    .vgpr_count:     13
    .vgpr_spill_count: 0
    .wavefront_size: 64
amdhsa.target:   amdgcn-amd-amdhsa--gfx906
amdhsa.version:
  - 1
  - 2
...

	.end_amdgpu_metadata
